;; amdgpu-corpus repo=ROCm/rocFFT kind=compiled arch=gfx1030 opt=O3
	.text
	.amdgcn_target "amdgcn-amd-amdhsa--gfx1030"
	.amdhsa_code_object_version 6
	.protected	fft_rtc_back_len136_factors_17_8_wgs_119_tpt_17_halfLds_sp_ip_CI_unitstride_sbrr_R2C_dirReg ; -- Begin function fft_rtc_back_len136_factors_17_8_wgs_119_tpt_17_halfLds_sp_ip_CI_unitstride_sbrr_R2C_dirReg
	.globl	fft_rtc_back_len136_factors_17_8_wgs_119_tpt_17_halfLds_sp_ip_CI_unitstride_sbrr_R2C_dirReg
	.p2align	8
	.type	fft_rtc_back_len136_factors_17_8_wgs_119_tpt_17_halfLds_sp_ip_CI_unitstride_sbrr_R2C_dirReg,@function
fft_rtc_back_len136_factors_17_8_wgs_119_tpt_17_halfLds_sp_ip_CI_unitstride_sbrr_R2C_dirReg: ; @fft_rtc_back_len136_factors_17_8_wgs_119_tpt_17_halfLds_sp_ip_CI_unitstride_sbrr_R2C_dirReg
; %bb.0:
	s_load_dwordx4 s[8:11], s[4:5], 0x0
	v_mul_u32_u24_e32 v1, 0xf10, v0
	s_clause 0x1
	s_load_dwordx2 s[2:3], s[4:5], 0x50
	s_load_dwordx2 s[12:13], s[4:5], 0x18
	v_mov_b32_e32 v5, 0
	v_mov_b32_e32 v3, 0
	;; [unrolled: 1-line block ×3, first 2 shown]
	v_lshrrev_b32_e32 v1, 16, v1
	v_mad_u64_u32 v[1:2], null, s6, 7, v[1:2]
	v_mov_b32_e32 v2, v5
	v_mov_b32_e32 v10, v2
	;; [unrolled: 1-line block ×3, first 2 shown]
	s_waitcnt lgkmcnt(0)
	v_cmp_lt_u64_e64 s0, s[10:11], 2
	s_and_b32 vcc_lo, exec_lo, s0
	s_cbranch_vccnz .LBB0_8
; %bb.1:
	s_load_dwordx2 s[0:1], s[4:5], 0x10
	v_mov_b32_e32 v3, 0
	v_mov_b32_e32 v8, v2
	s_add_u32 s6, s12, 8
	v_mov_b32_e32 v4, 0
	v_mov_b32_e32 v7, v1
	s_addc_u32 s7, s13, 0
	s_mov_b64 s[16:17], 1
	s_waitcnt lgkmcnt(0)
	s_add_u32 s14, s0, 8
	s_addc_u32 s15, s1, 0
.LBB0_2:                                ; =>This Inner Loop Header: Depth=1
	s_load_dwordx2 s[18:19], s[14:15], 0x0
                                        ; implicit-def: $vgpr9_vgpr10
	s_mov_b32 s0, exec_lo
	s_waitcnt lgkmcnt(0)
	v_or_b32_e32 v6, s19, v8
	v_cmpx_ne_u64_e32 0, v[5:6]
	s_xor_b32 s1, exec_lo, s0
	s_cbranch_execz .LBB0_4
; %bb.3:                                ;   in Loop: Header=BB0_2 Depth=1
	v_cvt_f32_u32_e32 v2, s18
	v_cvt_f32_u32_e32 v6, s19
	s_sub_u32 s0, 0, s18
	s_subb_u32 s20, 0, s19
	v_fmac_f32_e32 v2, 0x4f800000, v6
	v_rcp_f32_e32 v2, v2
	v_mul_f32_e32 v2, 0x5f7ffffc, v2
	v_mul_f32_e32 v6, 0x2f800000, v2
	v_trunc_f32_e32 v6, v6
	v_fmac_f32_e32 v2, 0xcf800000, v6
	v_cvt_u32_f32_e32 v6, v6
	v_cvt_u32_f32_e32 v2, v2
	v_mul_lo_u32 v9, s0, v6
	v_mul_hi_u32 v10, s0, v2
	v_mul_lo_u32 v11, s20, v2
	v_add_nc_u32_e32 v9, v10, v9
	v_mul_lo_u32 v10, s0, v2
	v_add_nc_u32_e32 v9, v9, v11
	v_mul_hi_u32 v11, v2, v10
	v_mul_lo_u32 v12, v2, v9
	v_mul_hi_u32 v13, v2, v9
	v_mul_hi_u32 v14, v6, v10
	v_mul_lo_u32 v10, v6, v10
	v_mul_hi_u32 v15, v6, v9
	v_mul_lo_u32 v9, v6, v9
	v_add_co_u32 v11, vcc_lo, v11, v12
	v_add_co_ci_u32_e32 v12, vcc_lo, 0, v13, vcc_lo
	v_add_co_u32 v10, vcc_lo, v11, v10
	v_add_co_ci_u32_e32 v10, vcc_lo, v12, v14, vcc_lo
	v_add_co_ci_u32_e32 v11, vcc_lo, 0, v15, vcc_lo
	v_add_co_u32 v9, vcc_lo, v10, v9
	v_add_co_ci_u32_e32 v10, vcc_lo, 0, v11, vcc_lo
	v_add_co_u32 v2, vcc_lo, v2, v9
	v_add_co_ci_u32_e32 v6, vcc_lo, v6, v10, vcc_lo
	v_mul_hi_u32 v9, s0, v2
	v_mul_lo_u32 v11, s20, v2
	v_mul_lo_u32 v10, s0, v6
	v_add_nc_u32_e32 v9, v9, v10
	v_mul_lo_u32 v10, s0, v2
	v_add_nc_u32_e32 v9, v9, v11
	v_mul_hi_u32 v11, v2, v10
	v_mul_lo_u32 v12, v2, v9
	v_mul_hi_u32 v13, v2, v9
	v_mul_hi_u32 v14, v6, v10
	v_mul_lo_u32 v10, v6, v10
	v_mul_hi_u32 v15, v6, v9
	v_mul_lo_u32 v9, v6, v9
	v_add_co_u32 v11, vcc_lo, v11, v12
	v_add_co_ci_u32_e32 v12, vcc_lo, 0, v13, vcc_lo
	v_add_co_u32 v10, vcc_lo, v11, v10
	v_add_co_ci_u32_e32 v10, vcc_lo, v12, v14, vcc_lo
	v_add_co_ci_u32_e32 v11, vcc_lo, 0, v15, vcc_lo
	v_add_co_u32 v9, vcc_lo, v10, v9
	v_add_co_ci_u32_e32 v10, vcc_lo, 0, v11, vcc_lo
	v_add_co_u32 v2, vcc_lo, v2, v9
	v_add_co_ci_u32_e32 v6, vcc_lo, v6, v10, vcc_lo
	v_mul_hi_u32 v15, v7, v2
	v_mad_u64_u32 v[11:12], null, v8, v2, 0
	v_mad_u64_u32 v[9:10], null, v7, v6, 0
	v_mad_u64_u32 v[13:14], null, v8, v6, 0
	v_add_co_u32 v2, vcc_lo, v15, v9
	v_add_co_ci_u32_e32 v6, vcc_lo, 0, v10, vcc_lo
	v_add_co_u32 v2, vcc_lo, v2, v11
	v_add_co_ci_u32_e32 v2, vcc_lo, v6, v12, vcc_lo
	v_add_co_ci_u32_e32 v6, vcc_lo, 0, v14, vcc_lo
	v_add_co_u32 v2, vcc_lo, v2, v13
	v_add_co_ci_u32_e32 v6, vcc_lo, 0, v6, vcc_lo
	v_mul_lo_u32 v11, s19, v2
	v_mad_u64_u32 v[9:10], null, s18, v2, 0
	v_mul_lo_u32 v12, s18, v6
	v_sub_co_u32 v9, vcc_lo, v7, v9
	v_add3_u32 v10, v10, v12, v11
	v_sub_nc_u32_e32 v11, v8, v10
	v_subrev_co_ci_u32_e64 v11, s0, s19, v11, vcc_lo
	v_add_co_u32 v12, s0, v2, 2
	v_add_co_ci_u32_e64 v13, s0, 0, v6, s0
	v_sub_co_u32 v14, s0, v9, s18
	v_sub_co_ci_u32_e32 v10, vcc_lo, v8, v10, vcc_lo
	v_subrev_co_ci_u32_e64 v11, s0, 0, v11, s0
	v_cmp_le_u32_e32 vcc_lo, s18, v14
	v_cmp_eq_u32_e64 s0, s19, v10
	v_cndmask_b32_e64 v14, 0, -1, vcc_lo
	v_cmp_le_u32_e32 vcc_lo, s19, v11
	v_cndmask_b32_e64 v15, 0, -1, vcc_lo
	v_cmp_le_u32_e32 vcc_lo, s18, v9
	;; [unrolled: 2-line block ×3, first 2 shown]
	v_cndmask_b32_e64 v16, 0, -1, vcc_lo
	v_cmp_eq_u32_e32 vcc_lo, s19, v11
	v_cndmask_b32_e64 v9, v16, v9, s0
	v_cndmask_b32_e32 v11, v15, v14, vcc_lo
	v_add_co_u32 v14, vcc_lo, v2, 1
	v_add_co_ci_u32_e32 v15, vcc_lo, 0, v6, vcc_lo
	v_cmp_ne_u32_e32 vcc_lo, 0, v11
	v_cndmask_b32_e32 v10, v15, v13, vcc_lo
	v_cndmask_b32_e32 v11, v14, v12, vcc_lo
	v_cmp_ne_u32_e32 vcc_lo, 0, v9
	v_cndmask_b32_e32 v10, v6, v10, vcc_lo
	v_cndmask_b32_e32 v9, v2, v11, vcc_lo
.LBB0_4:                                ;   in Loop: Header=BB0_2 Depth=1
	s_andn2_saveexec_b32 s0, s1
	s_cbranch_execz .LBB0_6
; %bb.5:                                ;   in Loop: Header=BB0_2 Depth=1
	v_cvt_f32_u32_e32 v2, s18
	s_sub_i32 s1, 0, s18
	v_rcp_iflag_f32_e32 v2, v2
	v_mul_f32_e32 v2, 0x4f7ffffe, v2
	v_cvt_u32_f32_e32 v2, v2
	v_mul_lo_u32 v6, s1, v2
	v_mul_hi_u32 v6, v2, v6
	v_add_nc_u32_e32 v2, v2, v6
	v_mul_hi_u32 v2, v7, v2
	v_mul_lo_u32 v6, v2, s18
	v_add_nc_u32_e32 v9, 1, v2
	v_sub_nc_u32_e32 v6, v7, v6
	v_subrev_nc_u32_e32 v10, s18, v6
	v_cmp_le_u32_e32 vcc_lo, s18, v6
	v_cndmask_b32_e32 v6, v6, v10, vcc_lo
	v_cndmask_b32_e32 v2, v2, v9, vcc_lo
	v_mov_b32_e32 v10, v5
	v_cmp_le_u32_e32 vcc_lo, s18, v6
	v_add_nc_u32_e32 v9, 1, v2
	v_cndmask_b32_e32 v9, v2, v9, vcc_lo
.LBB0_6:                                ;   in Loop: Header=BB0_2 Depth=1
	s_or_b32 exec_lo, exec_lo, s0
	s_load_dwordx2 s[0:1], s[6:7], 0x0
	v_mul_lo_u32 v2, v10, s18
	v_mul_lo_u32 v6, v9, s19
	v_mad_u64_u32 v[11:12], null, v9, s18, 0
	s_add_u32 s16, s16, 1
	s_addc_u32 s17, s17, 0
	s_add_u32 s6, s6, 8
	s_addc_u32 s7, s7, 0
	;; [unrolled: 2-line block ×3, first 2 shown]
	v_add3_u32 v2, v12, v6, v2
	v_sub_co_u32 v6, vcc_lo, v7, v11
	v_sub_co_ci_u32_e32 v2, vcc_lo, v8, v2, vcc_lo
	s_waitcnt lgkmcnt(0)
	v_mul_lo_u32 v7, s1, v6
	v_mul_lo_u32 v2, s0, v2
	v_mad_u64_u32 v[3:4], null, s0, v6, v[3:4]
	v_cmp_ge_u64_e64 s0, s[16:17], s[10:11]
	s_and_b32 vcc_lo, exec_lo, s0
	v_add3_u32 v4, v7, v4, v2
	s_cbranch_vccnz .LBB0_8
; %bb.7:                                ;   in Loop: Header=BB0_2 Depth=1
	v_mov_b32_e32 v7, v9
	v_mov_b32_e32 v8, v10
	s_branch .LBB0_2
.LBB0_8:
	v_mul_hi_u32 v2, 0x24924925, v1
	s_lshl_b64 s[0:1], s[10:11], 3
	s_load_dwordx2 s[4:5], s[4:5], 0x20
	s_add_u32 s0, s12, s0
	s_addc_u32 s1, s13, s1
	s_load_dwordx2 s[0:1], s[0:1], 0x0
	v_sub_nc_u32_e32 v5, v1, v2
	v_lshrrev_b32_e32 v5, 1, v5
	v_add_nc_u32_e32 v2, v5, v2
	v_mul_hi_u32 v5, 0xf0f0f10, v0
	s_waitcnt lgkmcnt(0)
	v_cmp_gt_u64_e32 vcc_lo, s[4:5], v[9:10]
	v_lshrrev_b32_e32 v2, 2, v2
	v_mul_lo_u32 v7, s0, v10
	v_mul_lo_u32 v8, s1, v9
	;; [unrolled: 1-line block ×3, first 2 shown]
	v_mad_u64_u32 v[2:3], null, s0, v9, v[3:4]
	v_mul_u32_u24_e32 v4, 17, v5
	v_sub_nc_u32_e32 v32, v0, v4
	v_sub_nc_u32_e32 v1, v1, v6
	v_add3_u32 v3, v8, v3, v7
	v_lshlrev_b32_e32 v39, 3, v32
	v_mul_u32_u24_e32 v1, 0x89, v1
	v_lshlrev_b64 v[34:35], 3, v[2:3]
	v_lshlrev_b32_e32 v41, 3, v1
	s_and_saveexec_b32 s1, vcc_lo
	s_cbranch_execz .LBB0_10
; %bb.9:
	v_mov_b32_e32 v33, 0
	v_add_co_u32 v2, s0, s2, v34
	v_add_co_ci_u32_e64 v3, s0, s3, v35, s0
	v_lshlrev_b64 v[0:1], 3, v[32:33]
	v_add3_u32 v16, 0, v41, v39
	v_add_co_u32 v0, s0, v2, v0
	v_add_co_ci_u32_e64 v1, s0, v3, v1, s0
	s_clause 0x7
	global_load_dwordx2 v[2:3], v[0:1], off
	global_load_dwordx2 v[4:5], v[0:1], off offset:136
	global_load_dwordx2 v[6:7], v[0:1], off offset:272
	;; [unrolled: 1-line block ×7, first 2 shown]
	s_waitcnt vmcnt(6)
	ds_write2_b64 v16, v[2:3], v[4:5] offset1:17
	s_waitcnt vmcnt(4)
	ds_write2_b64 v16, v[6:7], v[8:9] offset0:34 offset1:51
	s_waitcnt vmcnt(2)
	ds_write2_b64 v16, v[10:11], v[12:13] offset0:68 offset1:85
	;; [unrolled: 2-line block ×3, first 2 shown]
.LBB0_10:
	s_or_b32 exec_lo, exec_lo, s1
	v_add_nc_u32_e32 v33, 0, v41
	v_add3_u32 v40, 0, v39, v41
	s_waitcnt lgkmcnt(0)
	s_barrier
	buffer_gl0_inv
	v_add_nc_u32_e32 v38, v33, v39
	ds_read2_b64 v[12:15], v40 offset0:8 offset1:16
	ds_read2_b64 v[4:7], v40 offset0:24 offset1:32
	;; [unrolled: 1-line block ×4, first 2 shown]
	ds_read_b64 v[36:37], v38
	ds_read2_b64 v[24:27], v40 offset0:72 offset1:80
	ds_read2_b64 v[20:23], v40 offset0:88 offset1:96
	;; [unrolled: 1-line block ×4, first 2 shown]
	s_mov_b32 s1, exec_lo
	s_waitcnt lgkmcnt(0)
	s_barrier
	buffer_gl0_inv
	v_cmpx_gt_u32_e32 8, v32
	s_cbranch_execz .LBB0_12
; %bb.11:
	v_add_f32_e32 v43, v37, v13
	v_add_f32_e32 v50, v3, v13
	;; [unrolled: 1-line block ×3, first 2 shown]
	v_sub_f32_e32 v42, v12, v2
	v_add_f32_e32 v49, v1, v15
	v_add_f32_e32 v43, v43, v15
	v_mul_f32_e32 v54, 0xbf7ba420, v50
	v_add_f32_e32 v44, v44, v14
	v_sub_f32_e32 v46, v14, v0
	v_mul_f32_e32 v51, 0x3f6eb680, v49
	v_add_f32_e32 v43, v43, v5
	v_fmamk_f32 v45, v42, 0x3e3c28d5, v54
	v_add_f32_e32 v121, v11, v5
	v_add_f32_e32 v44, v44, v4
	v_fmamk_f32 v48, v46, 0xbeb8f4ab, v51
	v_add_f32_e32 v43, v43, v7
	v_add_f32_e32 v45, v37, v45
	v_sub_f32_e32 v47, v4, v10
	v_mul_f32_e32 v52, 0xbf59a7d5, v121
	v_add_f32_e32 v44, v44, v6
	v_add_f32_e32 v43, v43, v17
	;; [unrolled: 1-line block ×4, first 2 shown]
	v_fmamk_f32 v48, v47, 0x3f06c442, v52
	v_add_f32_e32 v44, v44, v16
	v_add_f32_e32 v43, v43, v19
	v_sub_f32_e32 v66, v29, v27
	v_sub_f32_e32 v139, v13, v3
	v_add_f32_e32 v56, v48, v45
	v_add_f32_e32 v45, v44, v18
	;; [unrolled: 1-line block ×3, first 2 shown]
	v_sub_f32_e32 v44, v28, v26
	v_sub_f32_e32 v43, v30, v24
	;; [unrolled: 1-line block ×3, first 2 shown]
	v_add_f32_e32 v58, v45, v28
	v_add_f32_e32 v57, v57, v31
	;; [unrolled: 1-line block ×8, first 2 shown]
	v_sub_f32_e32 v122, v17, v23
	v_mul_f32_e32 v61, 0x3eb8f4ab, v140
	v_add_f32_e32 v24, v58, v24
	v_add_f32_e32 v13, v29, v27
	;; [unrolled: 1-line block ×3, first 2 shown]
	v_mul_f32_e32 v58, 0xbe3c28d5, v139
	v_add_f32_e32 v27, v0, v14
	v_sub_f32_e32 v146, v5, v11
	v_add_f32_e32 v12, v13, v21
	v_mul_f32_e32 v53, 0x3f3d2fb0, v109
	v_fmamk_f32 v17, v29, 0xbf7ba420, v58
	v_sub_f32_e32 v48, v6, v8
	v_add_f32_e32 v55, v25, v31
	v_sub_f32_e32 v30, v31, v25
	v_sub_f32_e32 v25, v16, v22
	v_add_f32_e32 v31, v24, v26
	v_sub_f32_e32 v24, v18, v20
	v_add_f32_e32 v26, v22, v16
	v_add_f32_e32 v16, v20, v18
	;; [unrolled: 1-line block ×4, first 2 shown]
	v_fmamk_f32 v17, v27, 0x3f6eb680, v61
	v_add_f32_e32 v18, v10, v4
	v_mul_f32_e32 v62, 0xbf06c442, v146
	v_add_f32_e32 v124, v21, v19
	v_add_f32_e32 v13, v31, v20
	v_fmamk_f32 v15, v48, 0xbf2c7751, v53
	v_mul_f32_e32 v31, 0xbf1a4643, v110
	v_add_f32_e32 v4, v17, v5
	v_sub_f32_e32 v151, v7, v9
	v_fmamk_f32 v5, v18, 0xbf59a7d5, v62
	v_add_f32_e32 v7, v12, v9
	v_add_f32_e32 v15, v15, v56
	;; [unrolled: 1-line block ×3, first 2 shown]
	v_fmamk_f32 v6, v25, 0x3f4c4adb, v31
	v_add_f32_e32 v4, v5, v4
	v_mul_f32_e32 v56, 0x3ee437d1, v124
	v_add_f32_e32 v5, v7, v11
	v_mul_f32_e32 v64, 0x3f2c7751, v151
	;; [unrolled: 2-line block ×3, first 2 shown]
	v_fmamk_f32 v9, v24, 0xbf65296c, v56
	v_add_f32_e32 v1, v5, v1
	v_sub_f32_e32 v14, v19, v21
	v_add_f32_e32 v13, v13, v22
	v_fmamk_f32 v7, v17, 0x3f3d2fb0, v64
	v_mul_f32_e32 v59, 0xbf4c4adb, v122
	v_add_f32_e32 v1, v1, v3
	v_add_f32_e32 v3, v9, v6
	v_fmamk_f32 v5, v44, 0x3f763a35, v20
	v_mul_f32_e32 v19, 0x3dbcf732, v55
	v_mul_f32_e32 v78, 0xbf59a7d5, v50
	v_add_f32_e32 v8, v13, v8
	v_add_f32_e32 v4, v7, v4
	v_fmamk_f32 v7, v26, 0xbf1a4643, v59
	v_add_f32_e32 v3, v5, v3
	v_fmamk_f32 v5, v43, 0xbf7ee86f, v19
	v_mul_f32_e32 v79, 0xbf06c442, v139
	v_fmamk_f32 v6, v42, 0x3f06c442, v78
	v_mul_f32_e32 v87, 0x3ee437d1, v49
	v_add_f32_e32 v8, v8, v10
	v_add_f32_e32 v4, v7, v4
	;; [unrolled: 1-line block ×3, first 2 shown]
	v_fmamk_f32 v5, v29, 0xbf59a7d5, v79
	v_mul_f32_e32 v86, 0x3f65296c, v140
	v_add_f32_e32 v6, v37, v6
	v_fmamk_f32 v7, v46, 0xbf65296c, v87
	v_mul_f32_e32 v90, 0x3dbcf732, v121
	v_add_f32_e32 v0, v8, v0
	v_add_f32_e32 v5, v36, v5
	v_fmamk_f32 v8, v27, 0x3ee437d1, v86
	v_mul_f32_e32 v89, 0xbf7ee86f, v146
	v_add_f32_e32 v6, v7, v6
	v_fmamk_f32 v7, v47, 0x3f7ee86f, v90
	v_mul_f32_e32 v92, 0xbf1a4643, v109
	v_mul_f32_e32 v23, 0x3f65296c, v14
	v_add_f32_e32 v5, v8, v5
	v_fmamk_f32 v8, v18, 0x3dbcf732, v89
	v_mul_f32_e32 v91, 0x3f4c4adb, v151
	v_add_f32_e32 v6, v7, v6
	v_fmamk_f32 v7, v48, 0xbf4c4adb, v92
	;; [unrolled: 3-line block ×9, first 2 shown]
	v_add_f32_e32 v5, v8, v5
	v_fmamk_f32 v8, v16, 0xbf7ba420, v96
	v_mul_f32_e32 v60, 0x3f2c7751, v66
	v_add_f32_e32 v6, v7, v6
	v_fmamk_f32 v7, v44, 0xbf2c7751, v75
	v_mul_f32_e32 v57, 0xbe8c1d8e, v55
	v_add_f32_e32 v5, v8, v5
	v_fmamk_f32 v8, v45, 0x3f3d2fb0, v60
	v_add_f32_e32 v2, v4, v2
	v_add_f32_e32 v4, v7, v6
	v_fmamk_f32 v6, v43, 0x3f763a35, v57
	v_mul_f32_e32 v70, 0xbf1a4643, v50
	v_add_f32_e32 v7, v8, v5
	v_mul_f32_e32 v102, 0xbe8c1d8e, v49
	v_mul_f32_e32 v103, 0x3f6eb680, v121
	v_add_f32_e32 v5, v6, v4
	v_fmamk_f32 v4, v42, 0x3f4c4adb, v70
	v_mul_f32_e32 v104, 0xbf4c4adb, v139
	v_fmamk_f32 v9, v46, 0xbf763a35, v102
	v_mul_f32_e32 v82, 0xbf59a7d5, v109
	v_mul_f32_e32 v105, 0x3f763a35, v140
	v_add_f32_e32 v4, v37, v4
	v_fmamk_f32 v8, v29, 0xbf1a4643, v104
	v_mul_f32_e32 v83, 0x3dbcf732, v110
	v_mul_f32_e32 v107, 0xbeb8f4ab, v146
	v_fmamk_f32 v10, v27, 0xbe8c1d8e, v105
	v_add_f32_e32 v4, v9, v4
	v_fmamk_f32 v9, v47, 0x3eb8f4ab, v103
	v_add_f32_e32 v8, v36, v8
	v_mul_f32_e32 v84, 0x3f3d2fb0, v124
	v_mul_f32_e32 v63, 0xbf763a35, v30
	;; [unrolled: 1-line block ×3, first 2 shown]
	v_add_f32_e32 v4, v9, v4
	v_fmamk_f32 v9, v48, 0x3f06c442, v82
	v_add_f32_e32 v8, v10, v8
	v_fmamk_f32 v10, v18, 0x3f6eb680, v107
	v_mul_f32_e32 v85, 0xbf7ba420, v88
	v_fmamk_f32 v6, v28, 0xbe8c1d8e, v63
	v_add_f32_e32 v4, v9, v4
	v_fmamk_f32 v9, v25, 0xbf7ee86f, v83
	v_add_f32_e32 v8, v10, v8
	v_fmamk_f32 v10, v17, 0xbf59a7d5, v108
	v_mul_f32_e32 v98, 0x3f7ee86f, v122
	v_fmamk_f32 v11, v44, 0x3e3c28d5, v85
	v_add_f32_e32 v4, v9, v4
	v_fmamk_f32 v9, v24, 0x3f2c7751, v84
	v_mul_f32_e32 v67, 0x3ee437d1, v55
	v_add_f32_e32 v8, v10, v8
	v_fmamk_f32 v10, v26, 0x3dbcf732, v98
	v_mul_f32_e32 v99, 0xbf2c7751, v14
	v_add_f32_e32 v9, v9, v4
	v_add_f32_e32 v4, v6, v7
	v_fmamk_f32 v7, v43, 0xbf65296c, v67
	v_mul_f32_e32 v130, 0xbe8c1d8e, v50
	v_add_f32_e32 v8, v10, v8
	v_add_f32_e32 v6, v11, v9
	v_fmamk_f32 v10, v16, 0x3f3d2fb0, v99
	v_mul_f32_e32 v100, 0xbe3c28d5, v66
	v_mul_f32_e32 v153, 0xbf59a7d5, v49
	;; [unrolled: 1-line block ×3, first 2 shown]
	v_add_f32_e32 v7, v7, v6
	v_fmamk_f32 v6, v42, 0x3f763a35, v130
	v_add_f32_e32 v8, v10, v8
	v_fmamk_f32 v10, v45, 0xbf7ba420, v100
	v_fmamk_f32 v11, v46, 0xbf06c442, v153
	v_mul_f32_e32 v154, 0x3f3d2fb0, v121
	v_add_f32_e32 v6, v37, v6
	v_mul_f32_e32 v123, 0x3f06c442, v140
	v_add_f32_e32 v8, v10, v8
	v_fmamk_f32 v10, v29, 0xbe8c1d8e, v118
	v_mul_f32_e32 v132, 0x3ee437d1, v109
	v_add_f32_e32 v6, v11, v6
	v_fmamk_f32 v11, v47, 0xbf2c7751, v154
	v_fmamk_f32 v12, v27, 0xbf59a7d5, v123
	v_add_f32_e32 v10, v36, v10
	v_mul_f32_e32 v125, 0x3f2c7751, v146
	v_mul_f32_e32 v136, 0xbf7ba420, v110
	v_add_f32_e32 v6, v11, v6
	v_fmamk_f32 v11, v48, 0x3f65296c, v132
	v_add_f32_e32 v10, v12, v10
	v_fmamk_f32 v12, v18, 0x3f3d2fb0, v125
	v_mul_f32_e32 v106, 0xbf65296c, v151
	v_mul_f32_e32 v127, 0x3dbcf732, v124
	v_add_f32_e32 v6, v11, v6
	v_fmamk_f32 v11, v25, 0x3e3c28d5, v136
	v_mul_f32_e32 v80, 0x3f65296c, v30
	v_add_f32_e32 v10, v12, v10
	v_fmamk_f32 v12, v17, 0x3ee437d1, v106
	;; [unrolled: 3-line block ×3, first 2 shown]
	v_mul_f32_e32 v128, 0x3f6eb680, v88
	v_fmamk_f32 v9, v28, 0x3ee437d1, v80
	v_add_f32_e32 v10, v12, v10
	v_fmamk_f32 v12, v26, 0xbf7ba420, v76
	v_mul_f32_e32 v77, 0x3f7ee86f, v14
	v_add_f32_e32 v11, v11, v6
	v_fmamk_f32 v13, v44, 0x3eb8f4ab, v128
	v_mul_f32_e32 v71, 0xbf1a4643, v55
	;; [unrolled: 3-line block ×3, first 2 shown]
	v_add_f32_e32 v6, v9, v8
	v_add_f32_e32 v8, v13, v11
	v_fmamk_f32 v9, v43, 0x3f4c4adb, v71
	v_mul_f32_e32 v143, 0x3dbcf732, v50
	v_add_f32_e32 v10, v12, v10
	v_fmamk_f32 v12, v45, 0x3f6eb680, v81
	v_mul_f32_e32 v142, 0xbf7ee86f, v139
	;; [unrolled: 3-line block ×11, first 2 shown]
	v_mul_f32_e32 v97, 0xbf4c4adb, v30
	v_add_f32_e32 v12, v15, v12
	v_fmamk_f32 v15, v26, 0x3ee437d1, v156
	v_mul_f32_e32 v158, 0xbf06c442, v14
	v_add_f32_e32 v8, v13, v8
	v_fmamk_f32 v13, v24, 0x3f06c442, v157
	v_mul_f32_e32 v141, 0xbf1a4643, v88
	v_fmamk_f32 v11, v28, 0xbf1a4643, v97
	v_add_f32_e32 v12, v15, v12
	v_fmamk_f32 v15, v16, 0xbf59a7d5, v158
	v_mul_f32_e32 v119, 0x3f4c4adb, v66
	v_add_f32_e32 v13, v13, v8
	v_fmamk_f32 v65, v44, 0xbf4c4adb, v141
	v_mul_f32_e32 v112, 0x3f3d2fb0, v55
	v_add_f32_e32 v12, v15, v12
	v_fmamk_f32 v15, v45, 0xbf1a4643, v119
	v_add_f32_e32 v8, v11, v10
	v_add_f32_e32 v10, v65, v13
	v_fmamk_f32 v11, v43, 0xbf2c7751, v112
	v_mul_f32_e32 v133, 0x3ee437d1, v50
	v_mul_f32_e32 v163, 0xbf65296c, v139
	v_add_f32_e32 v12, v15, v12
	v_mul_f32_e32 v161, 0xbf1a4643, v49
	v_add_f32_e32 v11, v11, v10
	v_fmamk_f32 v10, v42, 0x3f65296c, v133
	v_fmamk_f32 v15, v29, 0x3ee437d1, v163
	v_mul_f32_e32 v165, 0xbf4c4adb, v140
	v_fmamk_f32 v65, v46, 0x3f4c4adb, v161
	v_mul_f32_e32 v162, 0xbf7ba420, v121
	v_add_f32_e32 v10, v37, v10
	v_add_f32_e32 v15, v36, v15
	v_fmamk_f32 v68, v27, 0xbf1a4643, v165
	v_mul_f32_e32 v166, 0x3e3c28d5, v146
	v_mul_f32_e32 v145, 0xbe8c1d8e, v109
	v_add_f32_e32 v10, v65, v10
	v_fmamk_f32 v65, v47, 0xbe3c28d5, v162
	v_add_f32_e32 v15, v68, v15
	v_fmamk_f32 v68, v18, 0xbf7ba420, v166
	v_mul_f32_e32 v167, 0x3f763a35, v151
	v_fmamk_f32 v69, v48, 0xbf763a35, v145
	v_add_f32_e32 v10, v65, v10
	v_mul_f32_e32 v65, 0x3f3d2fb0, v110
	v_add_f32_e32 v15, v68, v15
	v_fmamk_f32 v72, v17, 0xbe8c1d8e, v167
	v_mul_f32_e32 v160, 0x3f2c7751, v122
	v_mul_f32_e32 v129, 0x3f2c7751, v30
	v_add_f32_e32 v10, v69, v10
	v_fmamk_f32 v69, v25, 0xbf2c7751, v65
	v_mul_f32_e32 v68, 0x3f6eb680, v124
	v_add_f32_e32 v15, v72, v15
	v_fmamk_f32 v72, v26, 0x3f3d2fb0, v160
	v_mul_f32_e32 v73, 0xbeb8f4ab, v14
	v_fmamk_f32 v13, v28, 0x3f3d2fb0, v129
	v_add_f32_e32 v101, v69, v10
	v_fmamk_f32 v111, v24, 0x3eb8f4ab, v68
	v_mul_f32_e32 v69, 0x3dbcf732, v88
	v_add_f32_e32 v15, v72, v15
	v_fmamk_f32 v72, v16, 0x3f6eb680, v73
	v_mul_f32_e32 v74, 0xbf7ee86f, v66
	v_add_f32_e32 v10, v13, v12
	v_add_f32_e32 v12, v111, v101
	v_fmamk_f32 v13, v44, 0x3f7ee86f, v69
	v_add_f32_e32 v15, v72, v15
	v_mul_f32_e32 v72, 0xbf59a7d5, v55
	v_fmamk_f32 v111, v45, 0x3dbcf732, v74
	v_mul_f32_e32 v117, 0x3f3d2fb0, v50
	v_mul_f32_e32 v101, 0xbf06c442, v30
	v_add_f32_e32 v12, v13, v12
	v_fmamk_f32 v13, v43, 0x3f06c442, v72
	v_add_f32_e32 v15, v111, v15
	v_fmamk_f32 v111, v42, 0x3f2c7751, v117
	v_mul_f32_e32 v115, 0x3dbcf732, v49
	v_fmamk_f32 v113, v28, 0xbf59a7d5, v101
	v_mul_f32_e32 v126, 0xbf2c7751, v139
	v_add_f32_e32 v13, v13, v12
	v_add_f32_e32 v111, v37, v111
	v_fmamk_f32 v114, v46, 0x3f7ee86f, v115
	v_mul_f32_e32 v134, 0xbf1a4643, v121
	v_add_f32_e32 v12, v113, v15
	v_fmamk_f32 v15, v29, 0x3f3d2fb0, v126
	v_mul_f32_e32 v120, 0xbf7ee86f, v140
	;; [unrolled: 3-line block ×22, first 2 shown]
	v_mul_f32_e32 v139, 0x3eb8f4ab, v30
	v_add_f32_e32 v146, v174, v146
	v_fmamk_f32 v151, v24, 0x3f4c4adb, v124
	v_add_f32_e32 v171, v172, v171
	v_fmamk_f32 v172, v17, 0x3dbcf732, v140
	v_mul_f32_e32 v122, 0xbf763a35, v122
	v_fmac_f32_e32 v54, 0xbe3c28d5, v42
	v_fmamk_f32 v174, v28, 0x3f6eb680, v139
	v_add_f32_e32 v151, v151, v146
	v_add_f32_e32 v171, v172, v171
	v_fmamk_f32 v172, v26, 0xbe8c1d8e, v122
	v_mul_f32_e32 v146, 0xbf4c4adb, v14
	v_add_f32_e32 v54, v37, v54
	v_fmac_f32_e32 v51, 0x3eb8f4ab, v46
	v_fma_f32 v58, 0xbf7ba420, v29, -v58
	v_add_f32_e32 v14, v174, v173
	v_add_f32_e32 v171, v172, v171
	v_fmamk_f32 v172, v16, 0xbf1a4643, v146
	v_mul_f32_e32 v66, 0xbf06c442, v66
	v_mul_f32_e32 v173, 0xbf7ba420, v55
	v_add_f32_e32 v51, v51, v54
	v_fmac_f32_e32 v52, 0xbf06c442, v47
	v_add_f32_e32 v54, v36, v58
	v_fma_f32 v55, 0x3f6eb680, v27, -v61
	v_add_f32_e32 v171, v172, v171
	v_fmamk_f32 v172, v45, 0xbf59a7d5, v66
	v_add_f32_e32 v51, v52, v51
	v_fmac_f32_e32 v53, 0x3f2c7751, v48
	v_add_f32_e32 v54, v55, v54
	v_fma_f32 v55, 0xbf59a7d5, v18, -v62
	v_mul_f32_e32 v62, 0xbe3c28d5, v30
	v_add_f32_e32 v58, v172, v171
	v_add_f32_e32 v30, v53, v51
	v_fmac_f32_e32 v31, 0xbf4c4adb, v25
	v_add_f32_e32 v51, v55, v54
	v_fma_f32 v53, 0x3f3d2fb0, v17, -v64
	v_fmamk_f32 v54, v28, 0xbf7ba420, v62
	v_fmac_f32_e32 v78, 0xbf06c442, v42
	v_add_f32_e32 v30, v31, v30
	v_fmac_f32_e32 v87, 0x3f65296c, v46
	v_add_f32_e32 v31, v53, v51
	v_fma_f32 v53, 0xbf1a4643, v26, -v59
	v_add_f32_e32 v55, v37, v78
	v_add_f32_e32 v51, v54, v58
	v_fma_f32 v54, 0xbf59a7d5, v29, -v79
	v_fmac_f32_e32 v56, 0x3f65296c, v24
	v_add_f32_e32 v31, v53, v31
	v_add_f32_e32 v53, v87, v55
	v_fmac_f32_e32 v90, 0xbf7ee86f, v47
	v_fma_f32 v23, 0x3ee437d1, v16, -v23
	v_add_f32_e32 v54, v36, v54
	v_fma_f32 v55, 0x3ee437d1, v27, -v86
	v_add_f32_e32 v30, v56, v30
	v_fmac_f32_e32 v20, 0xbf763a35, v44
	v_add_f32_e32 v53, v90, v53
	v_fmac_f32_e32 v92, 0x3f4c4adb, v48
	v_add_f32_e32 v23, v23, v31
	v_add_f32_e32 v31, v55, v54
	v_fma_f32 v54, 0x3dbcf732, v18, -v89
	v_fma_f32 v22, 0xbe8c1d8e, v45, -v22
	v_add_f32_e32 v53, v92, v53
	v_fmac_f32_e32 v94, 0xbeb8f4ab, v25
	v_add_f32_e32 v20, v20, v30
	v_add_f32_e32 v30, v54, v31
	v_fma_f32 v31, 0xbf1a4643, v17, -v91
	v_add_f32_e32 v22, v22, v23
	v_add_f32_e32 v23, v94, v53
	v_fmac_f32_e32 v19, 0x3f7ee86f, v43
	v_fmac_f32_e32 v95, 0xbe3c28d5, v24
	v_add_f32_e32 v30, v31, v30
	v_fma_f32 v31, 0x3f6eb680, v26, -v93
	v_fma_f32 v21, 0x3dbcf732, v28, -v21
	v_add_f32_e32 v20, v19, v20
	v_add_f32_e32 v23, v95, v23
	v_fmac_f32_e32 v75, 0x3f2c7751, v44
	v_add_f32_e32 v30, v31, v30
	v_fma_f32 v31, 0xbf7ba420, v16, -v96
	v_add_f32_e32 v19, v21, v22
	v_fmac_f32_e32 v70, 0xbf4c4adb, v42
	v_fma_f32 v22, 0xbf1a4643, v29, -v104
	v_add_f32_e32 v21, v75, v23
	v_add_f32_e32 v23, v31, v30
	v_fma_f32 v30, 0x3f3d2fb0, v45, -v60
	v_add_f32_e32 v31, v37, v70
	v_fmac_f32_e32 v102, 0x3f763a35, v46
	v_add_f32_e32 v22, v36, v22
	v_fma_f32 v53, 0xbe8c1d8e, v27, -v105
	v_add_f32_e32 v23, v30, v23
	v_fmac_f32_e32 v103, 0xbeb8f4ab, v47
	v_add_f32_e32 v30, v102, v31
	v_fmac_f32_e32 v57, 0xbf763a35, v43
	v_add_f32_e32 v31, v53, v22
	v_fma_f32 v53, 0x3f6eb680, v18, -v107
	v_fma_f32 v54, 0xbe8c1d8e, v28, -v63
	v_add_f32_e32 v30, v103, v30
	v_fmac_f32_e32 v82, 0xbf06c442, v48
	v_fmac_f32_e32 v130, 0xbf763a35, v42
	v_add_f32_e32 v31, v53, v31
	v_fma_f32 v53, 0xbf59a7d5, v17, -v108
	v_add_f32_e32 v22, v57, v21
	v_add_f32_e32 v21, v54, v23
	v_add_f32_e32 v23, v82, v30
	v_fmac_f32_e32 v83, 0x3f7ee86f, v25
	v_add_f32_e32 v30, v53, v31
	v_add_f32_e32 v53, v37, v130
	v_fmac_f32_e32 v153, 0x3f06c442, v46
	v_fma_f32 v31, 0x3dbcf732, v26, -v98
	v_add_f32_e32 v23, v83, v23
	v_fmac_f32_e32 v84, 0xbf2c7751, v24
	v_fmac_f32_e32 v154, 0x3f2c7751, v47
	v_add_f32_e32 v53, v153, v53
	v_add_f32_e32 v30, v31, v30
	v_fma_f32 v31, 0x3f3d2fb0, v16, -v99
	v_add_f32_e32 v23, v84, v23
	v_fmac_f32_e32 v85, 0xbe3c28d5, v44
	v_add_f32_e32 v53, v154, v53
	v_fmac_f32_e32 v132, 0xbf65296c, v48
	v_fma_f32 v54, 0xbe8c1d8e, v29, -v118
	v_add_f32_e32 v30, v31, v30
	v_fma_f32 v31, 0xbf7ba420, v45, -v100
	v_add_f32_e32 v23, v85, v23
	v_fmac_f32_e32 v67, 0x3f65296c, v43
	v_add_f32_e32 v53, v132, v53
	v_fmac_f32_e32 v136, 0xbe3c28d5, v25
	v_add_f32_e32 v54, v36, v54
	v_fma_f32 v55, 0xbf59a7d5, v27, -v123
	v_add_f32_e32 v30, v31, v30
	v_fma_f32 v56, 0x3ee437d1, v28, -v80
	v_add_f32_e32 v31, v67, v23
	v_add_f32_e32 v23, v136, v53
	;; [unrolled: 1-line block ×3, first 2 shown]
	v_fma_f32 v54, 0x3f3d2fb0, v18, -v125
	v_fmac_f32_e32 v143, 0xbf7ee86f, v42
	v_add_f32_e32 v30, v56, v30
	v_fmac_f32_e32 v144, 0xbe3c28d5, v46
	v_fma_f32 v56, 0x3dbcf732, v29, -v142
	v_add_f32_e32 v53, v54, v53
	v_fma_f32 v54, 0x3ee437d1, v17, -v106
	v_add_f32_e32 v55, v37, v143
	v_fmac_f32_e32 v148, 0x3f763a35, v47
	v_add_f32_e32 v56, v36, v56
	v_fma_f32 v57, 0xbf7ba420, v27, -v147
	v_add_f32_e32 v53, v54, v53
	v_fma_f32 v54, 0xbf7ba420, v26, -v76
	v_add_f32_e32 v55, v144, v55
	v_fmac_f32_e32 v127, 0x3f7ee86f, v24
	v_fmac_f32_e32 v150, 0x3eb8f4ab, v48
	v_add_f32_e32 v56, v57, v56
	v_add_f32_e32 v53, v54, v53
	v_fma_f32 v54, 0x3dbcf732, v16, -v77
	v_add_f32_e32 v55, v148, v55
	v_fma_f32 v57, 0xbe8c1d8e, v18, -v149
	v_add_f32_e32 v23, v127, v23
	v_fmac_f32_e32 v128, 0xbeb8f4ab, v44
	v_add_f32_e32 v53, v54, v53
	v_fma_f32 v54, 0x3f6eb680, v45, -v81
	v_add_f32_e32 v55, v150, v55
	v_fmac_f32_e32 v155, 0xbf65296c, v25
	v_add_f32_e32 v56, v57, v56
	v_fma_f32 v57, 0x3f6eb680, v17, -v152
	v_add_f32_e32 v23, v128, v23
	v_add_f32_e32 v53, v54, v53
	v_fmac_f32_e32 v71, 0xbf4c4adb, v43
	v_add_f32_e32 v55, v155, v55
	v_fmac_f32_e32 v157, 0xbf06c442, v24
	v_add_f32_e32 v56, v57, v56
	v_fma_f32 v57, 0x3ee437d1, v26, -v156
	v_fma_f32 v58, 0xbf1a4643, v28, -v97
	v_fmac_f32_e32 v133, 0xbf65296c, v42
	v_add_f32_e32 v54, v71, v23
	v_add_f32_e32 v23, v157, v55
	v_fmac_f32_e32 v141, 0x3f4c4adb, v44
	v_add_f32_e32 v55, v57, v56
	v_fma_f32 v56, 0xbf59a7d5, v16, -v158
	v_add_f32_e32 v53, v58, v53
	v_fma_f32 v57, 0x3ee437d1, v29, -v163
	v_add_f32_e32 v58, v37, v133
	v_fmac_f32_e32 v161, 0xbf4c4adb, v46
	v_add_f32_e32 v23, v141, v23
	v_add_f32_e32 v55, v56, v55
	v_fma_f32 v56, 0xbf1a4643, v45, -v119
	v_add_f32_e32 v57, v36, v57
	v_fma_f32 v59, 0xbf1a4643, v27, -v165
	v_fmac_f32_e32 v112, 0x3f2c7751, v43
	v_add_f32_e32 v58, v161, v58
	v_fmac_f32_e32 v162, 0x3e3c28d5, v47
	v_add_f32_e32 v55, v56, v55
	v_add_f32_e32 v57, v59, v57
	v_fma_f32 v59, 0xbf7ba420, v18, -v166
	v_add_f32_e32 v56, v112, v23
	v_add_f32_e32 v23, v162, v58
	v_fmac_f32_e32 v145, 0x3f763a35, v48
	v_fma_f32 v58, 0xbe8c1d8e, v17, -v167
	v_add_f32_e32 v57, v59, v57
	v_fmac_f32_e32 v117, 0xbf2c7751, v42
	v_fmac_f32_e32 v65, 0x3f2c7751, v25
	v_add_f32_e32 v23, v145, v23
	v_fmac_f32_e32 v115, 0xbf7ee86f, v46
	v_add_f32_e32 v57, v58, v57
	v_fma_f32 v58, 0x3f3d2fb0, v26, -v160
	v_add_f32_e32 v59, v37, v117
	v_add_f32_e32 v23, v65, v23
	v_fmac_f32_e32 v68, 0xbeb8f4ab, v24
	v_fmac_f32_e32 v134, 0xbf4c4adb, v47
	v_add_f32_e32 v57, v58, v57
	v_fma_f32 v58, 0x3f6eb680, v16, -v73
	v_add_f32_e32 v59, v115, v59
	v_add_f32_e32 v23, v68, v23
	v_fmac_f32_e32 v69, 0xbf7ee86f, v44
	;; [unrolled: 6-line block ×3, first 2 shown]
	v_fmac_f32_e32 v138, 0x3f06c442, v25
	v_add_f32_e32 v57, v58, v57
	v_add_f32_e32 v59, v137, v59
	v_fmac_f32_e32 v164, 0xbeb8f4ab, v42
	v_add_f32_e32 v58, v72, v23
	v_fma_f32 v23, 0x3f3d2fb0, v29, -v126
	v_fmac_f32_e32 v135, 0x3f763a35, v24
	v_add_f32_e32 v42, v138, v59
	v_fma_f32 v59, 0x3dbcf732, v27, -v120
	v_fma_f32 v29, 0x3f6eb680, v29, -v170
	v_add_f32_e32 v23, v36, v23
	v_add_f32_e32 v37, v37, v164
	;; [unrolled: 1-line block ×3, first 2 shown]
	v_fmac_f32_e32 v131, 0x3f65296c, v44
	v_add_f32_e32 v29, v36, v29
	v_add_f32_e32 v23, v59, v23
	v_fma_f32 v59, 0xbf1a4643, v18, -v116
	v_fmac_f32_e32 v159, 0xbf2c7751, v46
	v_fma_f32 v27, 0x3f3d2fb0, v27, -v169
	v_add_f32_e32 v36, v131, v42
	v_fma_f32 v42, 0xbf7ba420, v17, -v114
	v_add_f32_e32 v23, v59, v23
	v_add_f32_e32 v37, v159, v37
	v_fmac_f32_e32 v121, 0xbf65296c, v47
	v_add_f32_e32 v27, v27, v29
	v_fma_f32 v18, 0x3ee437d1, v18, -v168
	v_add_f32_e32 v23, v42, v23
	v_fma_f32 v29, 0xbf59a7d5, v26, -v111
	v_add_f32_e32 v37, v121, v37
	v_fmac_f32_e32 v109, 0xbf7ee86f, v48
	v_add_f32_e32 v18, v18, v27
	v_fma_f32 v17, 0x3dbcf732, v17, -v140
	v_mul_f32_e32 v88, 0xbf59a7d5, v88
	v_add_f32_e32 v23, v29, v23
	v_fma_f32 v27, 0xbe8c1d8e, v16, -v113
	v_add_f32_e32 v29, v109, v37
	v_fmac_f32_e32 v110, 0xbf763a35, v25
	v_add_f32_e32 v17, v17, v18
	v_fma_f32 v18, 0xbe8c1d8e, v26, -v122
	v_fmamk_f32 v175, v44, 0x3f06c442, v88
	v_add_f32_e32 v23, v27, v23
	v_fma_f32 v25, 0x3ee437d1, v45, -v50
	v_add_f32_e32 v26, v110, v29
	v_fmac_f32_e32 v124, 0xbf4c4adb, v24
	v_add_f32_e32 v17, v18, v17
	v_fma_f32 v16, 0xbf1a4643, v16, -v146
	v_add_f32_e32 v151, v175, v151
	v_fmamk_f32 v61, v43, 0x3e3c28d5, v173
	v_fma_f32 v60, 0x3f3d2fb0, v28, -v129
	v_add_f32_e32 v18, v25, v23
	v_add_f32_e32 v23, v124, v26
	v_fmac_f32_e32 v88, 0xbf06c442, v44
	v_add_f32_e32 v16, v16, v17
	v_fma_f32 v17, 0xbf59a7d5, v45, -v66
	v_mul_u32_u24_e32 v25, 0x88, v32
	v_add_f32_e32 v52, v61, v151
	v_add_f32_e32 v55, v60, v55
	v_fma_f32 v60, 0xbf59a7d5, v28, -v101
	v_fmac_f32_e32 v49, 0x3eb8f4ab, v43
	v_fma_f32 v24, 0x3f6eb680, v28, -v139
	v_add_f32_e32 v23, v88, v23
	v_fmac_f32_e32 v173, 0xbe3c28d5, v43
	v_add_f32_e32 v26, v17, v16
	v_fma_f32 v27, 0xbf7ba420, v28, -v62
	v_add3_u32 v25, 0, v25, v41
	v_add_f32_e32 v57, v60, v57
	v_add_f32_e32 v17, v49, v36
	;; [unrolled: 1-line block ×5, first 2 shown]
	ds_write2_b64 v25, v[0:1], v[51:52] offset1:1
	ds_write2_b64 v25, v[14:15], v[12:13] offset0:2 offset1:3
	ds_write2_b64 v25, v[10:11], v[8:9] offset0:4 offset1:5
	;; [unrolled: 1-line block ×7, first 2 shown]
	ds_write_b64 v25, v[23:24] offset:128
.LBB0_12:
	s_or_b32 exec_lo, exec_lo, s1
	v_mul_u32_u24_e32 v0, 7, v32
	s_waitcnt lgkmcnt(0)
	s_barrier
	buffer_gl0_inv
	s_mov_b32 s1, exec_lo
	v_lshlrev_b32_e32 v12, 3, v0
	s_clause 0x3
	global_load_dwordx4 v[0:3], v12, s[8:9]
	global_load_dwordx4 v[4:7], v12, s[8:9] offset:16
	global_load_dwordx4 v[8:11], v12, s[8:9] offset:32
	global_load_dwordx2 v[20:21], v12, s[8:9] offset:48
	ds_read2_b64 v[12:15], v40 offset0:17 offset1:34
	ds_read2_b64 v[16:19], v40 offset0:51 offset1:68
	ds_read_b64 v[22:23], v40 offset:680
	ds_read2_b32 v[24:25], v40 offset0:204 offset1:205
	ds_read_b64 v[26:27], v40 offset:952
	ds_read_b64 v[28:29], v38
	s_waitcnt vmcnt(0) lgkmcnt(0)
	s_barrier
	buffer_gl0_inv
	v_mul_f32_e32 v30, v1, v13
	v_mul_f32_e32 v1, v1, v12
	v_mul_f32_e32 v31, v3, v15
	v_mul_f32_e32 v3, v3, v14
	v_mul_f32_e32 v36, v5, v17
	v_mul_f32_e32 v5, v5, v16
	v_mul_f32_e32 v37, v7, v19
	v_mul_f32_e32 v7, v7, v18
	v_mul_f32_e32 v41, v9, v23
	v_mul_f32_e32 v9, v9, v22
	v_mul_f32_e32 v42, v25, v11
	v_mul_f32_e32 v11, v11, v24
	v_mul_f32_e32 v43, v27, v21
	v_mul_f32_e32 v21, v26, v21
	v_fmac_f32_e32 v30, v0, v12
	v_fma_f32 v0, v0, v13, -v1
	v_fmac_f32_e32 v31, v2, v14
	v_fma_f32 v1, v2, v15, -v3
	;; [unrolled: 2-line block ×7, first 2 shown]
	v_sub_f32_e32 v7, v28, v37
	v_sub_f32_e32 v3, v29, v3
	;; [unrolled: 1-line block ×8, first 2 shown]
	v_fma_f32 v11, v28, 2.0, -v7
	v_fma_f32 v12, v29, 2.0, -v3
	;; [unrolled: 1-line block ×8, first 2 shown]
	v_add_f32_e32 v16, v7, v5
	v_sub_f32_e32 v17, v3, v8
	v_add_f32_e32 v6, v9, v6
	v_sub_f32_e32 v8, v4, v10
	v_sub_f32_e32 v10, v11, v13
	;; [unrolled: 1-line block ×3, first 2 shown]
	v_fma_f32 v18, v7, 2.0, -v16
	v_fma_f32 v19, v3, 2.0, -v17
	v_sub_f32_e32 v5, v14, v0
	v_sub_f32_e32 v7, v15, v2
	v_fma_f32 v9, v9, 2.0, -v6
	v_fma_f32 v20, v4, 2.0, -v8
	v_fmamk_f32 v0, v6, 0x3f3504f3, v16
	v_fmamk_f32 v1, v8, 0x3f3504f3, v17
	v_fma_f32 v21, v11, 2.0, -v10
	v_fma_f32 v22, v12, 2.0, -v13
	;; [unrolled: 1-line block ×4, first 2 shown]
	v_fmamk_f32 v2, v9, 0xbf3504f3, v18
	v_fmamk_f32 v3, v20, 0xbf3504f3, v19
	v_add_f32_e32 v4, v10, v7
	v_sub_f32_e32 v5, v13, v5
	v_fmac_f32_e32 v0, 0x3f3504f3, v8
	v_fmac_f32_e32 v1, 0xbf3504f3, v6
	v_sub_f32_e32 v6, v21, v11
	v_sub_f32_e32 v7, v22, v12
	v_fmac_f32_e32 v2, 0x3f3504f3, v20
	v_fmac_f32_e32 v3, 0xbf3504f3, v9
	v_fma_f32 v8, v10, 2.0, -v4
	v_fma_f32 v9, v13, 2.0, -v5
	;; [unrolled: 1-line block ×8, first 2 shown]
	ds_write2_b64 v40, v[4:5], v[0:1] offset0:102 offset1:119
	ds_write2_b64 v40, v[8:9], v[10:11] offset0:34 offset1:51
	;; [unrolled: 1-line block ×3, first 2 shown]
	ds_write2_b64 v40, v[12:13], v[14:15] offset1:17
	s_waitcnt lgkmcnt(0)
	s_barrier
	buffer_gl0_inv
	ds_read_b64 v[0:1], v38
	v_sub_nc_u32_e32 v4, v33, v39
                                        ; implicit-def: $vgpr6
                                        ; implicit-def: $vgpr5
                                        ; implicit-def: $vgpr2_vgpr3
	v_cmpx_ne_u32_e32 0, v32
	s_xor_b32 s1, exec_lo, s1
	s_cbranch_execz .LBB0_14
; %bb.13:
	v_mov_b32_e32 v33, 0
	ds_read_b64 v[5:6], v4 offset:1088
	v_lshlrev_b64 v[2:3], 3, v[32:33]
	v_add_co_u32 v2, s0, s8, v2
	v_add_co_ci_u32_e64 v3, s0, s9, v3, s0
	global_load_dwordx2 v[2:3], v[2:3], off offset:952
	s_waitcnt lgkmcnt(0)
	v_sub_f32_e32 v7, v0, v5
	v_add_f32_e32 v8, v6, v1
	v_sub_f32_e32 v1, v1, v6
	v_add_f32_e32 v0, v5, v0
	v_mul_f32_e32 v6, 0.5, v7
	v_mul_f32_e32 v7, 0.5, v8
	;; [unrolled: 1-line block ×3, first 2 shown]
	s_waitcnt vmcnt(0)
	v_mul_f32_e32 v8, v3, v6
	v_fma_f32 v9, v7, v3, v1
	v_fma_f32 v1, v7, v3, -v1
	v_fma_f32 v5, 0.5, v0, v8
	v_fma_f32 v0, v0, 0.5, -v8
	v_fma_f32 v8, -v2, v6, v9
	v_fma_f32 v1, -v2, v6, v1
	ds_write_b32 v38, v8 offset:4
	ds_write_b32 v4, v1 offset:1092
	v_fmac_f32_e32 v5, v2, v7
	v_fma_f32 v6, -v2, v7, v0
	v_mov_b32_e32 v2, v32
	v_mov_b32_e32 v3, v33
                                        ; implicit-def: $vgpr0_vgpr1
                                        ; implicit-def: $vgpr33
.LBB0_14:
	s_andn2_saveexec_b32 s0, s1
	s_cbranch_execz .LBB0_16
; %bb.15:
	v_mov_b32_e32 v2, 0
	s_waitcnt lgkmcnt(0)
	v_add_f32_e32 v5, v0, v1
	v_sub_f32_e32 v6, v0, v1
	ds_write_b32 v38, v2 offset:4
	ds_write_b32 v4, v2 offset:1092
	ds_read_b32 v2, v33 offset:548
	s_waitcnt lgkmcnt(0)
	v_xor_b32_e32 v7, 0x80000000, v2
	v_mov_b32_e32 v2, 0
	v_mov_b32_e32 v3, 0
	ds_write_b32 v33, v7 offset:548
.LBB0_16:
	s_or_b32 exec_lo, exec_lo, s0
	s_waitcnt lgkmcnt(0)
	v_lshlrev_b64 v[0:1], 3, v[2:3]
	s_add_u32 s0, s8, 0x3b8
	s_addc_u32 s1, s9, 0
	v_add_co_u32 v2, s0, s0, v0
	v_add_co_ci_u32_e64 v3, s0, s1, v1, s0
	s_clause 0x2
	global_load_dwordx2 v[7:8], v[2:3], off offset:136
	global_load_dwordx2 v[9:10], v[2:3], off offset:272
	;; [unrolled: 1-line block ×3, first 2 shown]
	ds_write_b32 v38, v5
	ds_write_b32 v4, v6 offset:1088
	ds_read_b64 v[5:6], v38 offset:136
	ds_read_b64 v[11:12], v4 offset:952
	s_waitcnt lgkmcnt(0)
	v_sub_f32_e32 v13, v5, v11
	v_add_f32_e32 v14, v6, v12
	v_sub_f32_e32 v6, v6, v12
	v_add_f32_e32 v5, v5, v11
	v_mul_f32_e32 v12, 0.5, v13
	v_mul_f32_e32 v13, 0.5, v14
	v_mul_f32_e32 v6, 0.5, v6
	s_waitcnt vmcnt(2)
	v_mul_f32_e32 v11, v8, v12
	v_fma_f32 v14, v13, v8, v6
	v_fma_f32 v6, v13, v8, -v6
	v_fma_f32 v8, 0.5, v5, v11
	v_fma_f32 v5, v5, 0.5, -v11
	v_fma_f32 v11, -v7, v12, v14
	v_fma_f32 v6, -v7, v12, v6
	v_fmac_f32_e32 v8, v7, v13
	v_fma_f32 v5, -v7, v13, v5
	ds_write2_b32 v38, v8, v11 offset0:34 offset1:35
	ds_write_b64 v4, v[5:6] offset:952
	ds_read_b64 v[5:6], v38 offset:272
	ds_read_b64 v[7:8], v4 offset:816
	s_waitcnt lgkmcnt(0)
	v_sub_f32_e32 v11, v5, v7
	v_add_f32_e32 v12, v6, v8
	v_sub_f32_e32 v6, v6, v8
	v_add_f32_e32 v5, v5, v7
	v_mul_f32_e32 v8, 0.5, v11
	v_mul_f32_e32 v11, 0.5, v12
	v_mul_f32_e32 v6, 0.5, v6
	s_waitcnt vmcnt(1)
	v_mul_f32_e32 v7, v10, v8
	v_fma_f32 v12, v11, v10, v6
	v_fma_f32 v6, v11, v10, -v6
	v_fma_f32 v10, 0.5, v5, v7
	v_fma_f32 v5, v5, 0.5, -v7
	v_fma_f32 v7, -v9, v8, v12
	v_fma_f32 v6, -v9, v8, v6
	v_fmac_f32_e32 v10, v9, v11
	v_fma_f32 v5, -v9, v11, v5
	ds_write2_b32 v38, v10, v7 offset0:68 offset1:69
	ds_write_b64 v4, v[5:6] offset:816
	;; [unrolled: 22-line block ×3, first 2 shown]
	s_waitcnt lgkmcnt(0)
	s_barrier
	buffer_gl0_inv
	s_and_saveexec_b32 s0, vcc_lo
	s_cbranch_execz .LBB0_19
; %bb.17:
	ds_read2_b64 v[4:7], v38 offset1:17
	ds_read2_b64 v[8:11], v38 offset0:34 offset1:51
	ds_read2_b64 v[12:15], v38 offset0:68 offset1:85
	;; [unrolled: 1-line block ×3, first 2 shown]
	v_add_co_u32 v2, vcc_lo, s2, v34
	v_add_co_ci_u32_e32 v3, vcc_lo, s3, v35, vcc_lo
	v_add_co_u32 v0, vcc_lo, v2, v0
	v_add_co_ci_u32_e32 v1, vcc_lo, v3, v1, vcc_lo
	v_cmp_eq_u32_e32 vcc_lo, 16, v32
	s_waitcnt lgkmcnt(3)
	global_store_dwordx2 v[0:1], v[4:5], off
	global_store_dwordx2 v[0:1], v[6:7], off offset:136
	s_waitcnt lgkmcnt(2)
	global_store_dwordx2 v[0:1], v[8:9], off offset:272
	global_store_dwordx2 v[0:1], v[10:11], off offset:408
	s_waitcnt lgkmcnt(1)
	global_store_dwordx2 v[0:1], v[12:13], off offset:544
	;; [unrolled: 3-line block ×3, first 2 shown]
	global_store_dwordx2 v[0:1], v[18:19], off offset:952
	s_and_b32 exec_lo, exec_lo, vcc_lo
	s_cbranch_execz .LBB0_19
; %bb.18:
	ds_read_b64 v[0:1], v38 offset:960
	s_waitcnt lgkmcnt(0)
	global_store_dwordx2 v[2:3], v[0:1], off offset:1088
.LBB0_19:
	s_endpgm
	.section	.rodata,"a",@progbits
	.p2align	6, 0x0
	.amdhsa_kernel fft_rtc_back_len136_factors_17_8_wgs_119_tpt_17_halfLds_sp_ip_CI_unitstride_sbrr_R2C_dirReg
		.amdhsa_group_segment_fixed_size 0
		.amdhsa_private_segment_fixed_size 0
		.amdhsa_kernarg_size 88
		.amdhsa_user_sgpr_count 6
		.amdhsa_user_sgpr_private_segment_buffer 1
		.amdhsa_user_sgpr_dispatch_ptr 0
		.amdhsa_user_sgpr_queue_ptr 0
		.amdhsa_user_sgpr_kernarg_segment_ptr 1
		.amdhsa_user_sgpr_dispatch_id 0
		.amdhsa_user_sgpr_flat_scratch_init 0
		.amdhsa_user_sgpr_private_segment_size 0
		.amdhsa_wavefront_size32 1
		.amdhsa_uses_dynamic_stack 0
		.amdhsa_system_sgpr_private_segment_wavefront_offset 0
		.amdhsa_system_sgpr_workgroup_id_x 1
		.amdhsa_system_sgpr_workgroup_id_y 0
		.amdhsa_system_sgpr_workgroup_id_z 0
		.amdhsa_system_sgpr_workgroup_info 0
		.amdhsa_system_vgpr_workitem_id 0
		.amdhsa_next_free_vgpr 176
		.amdhsa_next_free_sgpr 21
		.amdhsa_reserve_vcc 1
		.amdhsa_reserve_flat_scratch 0
		.amdhsa_float_round_mode_32 0
		.amdhsa_float_round_mode_16_64 0
		.amdhsa_float_denorm_mode_32 3
		.amdhsa_float_denorm_mode_16_64 3
		.amdhsa_dx10_clamp 1
		.amdhsa_ieee_mode 1
		.amdhsa_fp16_overflow 0
		.amdhsa_workgroup_processor_mode 1
		.amdhsa_memory_ordered 1
		.amdhsa_forward_progress 0
		.amdhsa_shared_vgpr_count 0
		.amdhsa_exception_fp_ieee_invalid_op 0
		.amdhsa_exception_fp_denorm_src 0
		.amdhsa_exception_fp_ieee_div_zero 0
		.amdhsa_exception_fp_ieee_overflow 0
		.amdhsa_exception_fp_ieee_underflow 0
		.amdhsa_exception_fp_ieee_inexact 0
		.amdhsa_exception_int_div_zero 0
	.end_amdhsa_kernel
	.text
.Lfunc_end0:
	.size	fft_rtc_back_len136_factors_17_8_wgs_119_tpt_17_halfLds_sp_ip_CI_unitstride_sbrr_R2C_dirReg, .Lfunc_end0-fft_rtc_back_len136_factors_17_8_wgs_119_tpt_17_halfLds_sp_ip_CI_unitstride_sbrr_R2C_dirReg
                                        ; -- End function
	.section	.AMDGPU.csdata,"",@progbits
; Kernel info:
; codeLenInByte = 7816
; NumSgprs: 23
; NumVgprs: 176
; ScratchSize: 0
; MemoryBound: 0
; FloatMode: 240
; IeeeMode: 1
; LDSByteSize: 0 bytes/workgroup (compile time only)
; SGPRBlocks: 2
; VGPRBlocks: 21
; NumSGPRsForWavesPerEU: 23
; NumVGPRsForWavesPerEU: 176
; Occupancy: 5
; WaveLimiterHint : 1
; COMPUTE_PGM_RSRC2:SCRATCH_EN: 0
; COMPUTE_PGM_RSRC2:USER_SGPR: 6
; COMPUTE_PGM_RSRC2:TRAP_HANDLER: 0
; COMPUTE_PGM_RSRC2:TGID_X_EN: 1
; COMPUTE_PGM_RSRC2:TGID_Y_EN: 0
; COMPUTE_PGM_RSRC2:TGID_Z_EN: 0
; COMPUTE_PGM_RSRC2:TIDIG_COMP_CNT: 0
	.text
	.p2alignl 6, 3214868480
	.fill 48, 4, 3214868480
	.type	__hip_cuid_91da7d454ced9572,@object ; @__hip_cuid_91da7d454ced9572
	.section	.bss,"aw",@nobits
	.globl	__hip_cuid_91da7d454ced9572
__hip_cuid_91da7d454ced9572:
	.byte	0                               ; 0x0
	.size	__hip_cuid_91da7d454ced9572, 1

	.ident	"AMD clang version 19.0.0git (https://github.com/RadeonOpenCompute/llvm-project roc-6.4.0 25133 c7fe45cf4b819c5991fe208aaa96edf142730f1d)"
	.section	".note.GNU-stack","",@progbits
	.addrsig
	.addrsig_sym __hip_cuid_91da7d454ced9572
	.amdgpu_metadata
---
amdhsa.kernels:
  - .args:
      - .actual_access:  read_only
        .address_space:  global
        .offset:         0
        .size:           8
        .value_kind:     global_buffer
      - .offset:         8
        .size:           8
        .value_kind:     by_value
      - .actual_access:  read_only
        .address_space:  global
        .offset:         16
        .size:           8
        .value_kind:     global_buffer
      - .actual_access:  read_only
        .address_space:  global
        .offset:         24
        .size:           8
        .value_kind:     global_buffer
      - .offset:         32
        .size:           8
        .value_kind:     by_value
      - .actual_access:  read_only
        .address_space:  global
        .offset:         40
        .size:           8
        .value_kind:     global_buffer
      - .actual_access:  read_only
        .address_space:  global
        .offset:         48
        .size:           8
        .value_kind:     global_buffer
      - .offset:         56
        .size:           4
        .value_kind:     by_value
      - .actual_access:  read_only
        .address_space:  global
        .offset:         64
        .size:           8
        .value_kind:     global_buffer
      - .actual_access:  read_only
        .address_space:  global
        .offset:         72
        .size:           8
        .value_kind:     global_buffer
      - .address_space:  global
        .offset:         80
        .size:           8
        .value_kind:     global_buffer
    .group_segment_fixed_size: 0
    .kernarg_segment_align: 8
    .kernarg_segment_size: 88
    .language:       OpenCL C
    .language_version:
      - 2
      - 0
    .max_flat_workgroup_size: 119
    .name:           fft_rtc_back_len136_factors_17_8_wgs_119_tpt_17_halfLds_sp_ip_CI_unitstride_sbrr_R2C_dirReg
    .private_segment_fixed_size: 0
    .sgpr_count:     23
    .sgpr_spill_count: 0
    .symbol:         fft_rtc_back_len136_factors_17_8_wgs_119_tpt_17_halfLds_sp_ip_CI_unitstride_sbrr_R2C_dirReg.kd
    .uniform_work_group_size: 1
    .uses_dynamic_stack: false
    .vgpr_count:     176
    .vgpr_spill_count: 0
    .wavefront_size: 32
    .workgroup_processor_mode: 1
amdhsa.target:   amdgcn-amd-amdhsa--gfx1030
amdhsa.version:
  - 1
  - 2
...

	.end_amdgpu_metadata
